;; amdgpu-corpus repo=zjin-lcf/HeCBench kind=compiled arch=gfx1250 opt=O3
	.amdgcn_target "amdgcn-amd-amdhsa--gfx1250"
	.amdhsa_code_object_version 6
	.text
	.protected	_Z17chemicalPotentialPA256_A256_KdPA256_A256_dddddddd ; -- Begin function _Z17chemicalPotentialPA256_A256_KdPA256_A256_dddddddd
	.globl	_Z17chemicalPotentialPA256_A256_KdPA256_A256_dddddddd
	.p2align	8
	.type	_Z17chemicalPotentialPA256_A256_KdPA256_A256_dddddddd,@function
_Z17chemicalPotentialPA256_A256_KdPA256_A256_dddddddd: ; @_Z17chemicalPotentialPA256_A256_KdPA256_A256_dddddddd
; %bb.0:
	s_load_b64 s[2:3], s[0:1], 0x54
	s_bfe_u32 s5, ttmp6, 0x40014
	s_bfe_u32 s8, ttmp6, 0x40010
	;; [unrolled: 1-line block ×3, first 2 shown]
	s_lshr_b32 s4, ttmp7, 16
	s_and_b32 s7, ttmp7, 0xffff
	s_add_co_i32 s5, s5, 1
	s_add_co_i32 s8, s8, 1
	;; [unrolled: 1-line block ×3, first 2 shown]
	s_bfe_u32 s6, ttmp6, 0x40008
	s_bfe_u32 s9, ttmp6, 0x40004
	s_and_b32 s10, ttmp6, 15
	s_mul_i32 s5, s4, s5
	s_mul_i32 s8, s7, s8
	s_mul_i32 s11, ttmp9, s11
	s_getreg_b32 s12, hwreg(HW_REG_IB_STS2, 6, 4)
	s_add_co_i32 s6, s6, s5
	s_add_co_i32 s9, s9, s8
	;; [unrolled: 1-line block ×3, first 2 shown]
	v_and_b32_e32 v1, 0x3ff, v0
	s_wait_kmcnt 0x0
	s_and_b32 s3, s3, 0xffff
	s_lshr_b32 s5, s2, 16
	s_and_b32 s2, s2, 0xffff
	s_cmp_eq_u32 s12, 0
	v_bfe_u32 v2, v0, 10, 10
	v_bfe_u32 v0, v0, 20, 10
	s_cselect_b32 s8, ttmp9, s10
	s_cselect_b32 s4, s4, s6
	v_mad_u32 v6, s8, s2, v1
	s_cselect_b32 s2, s7, s9
	s_delay_alu instid0(SALU_CYCLE_1) | instskip(SKIP_2) | instid1(VALU_DEP_1)
	v_mad_u32 v4, s2, s5, v2
	v_mad_u32 v2, s4, s3, v0
	s_mov_b32 s2, exec_lo
	v_or3_b32 v0, v4, v6, v2
	s_delay_alu instid0(VALU_DEP_1)
	v_cmpx_gt_u32_e32 0x100, v0
	s_cbranch_execz .LBB0_2
; %bb.1:
	s_load_b512 s[4:19], s[0:1], 0x0
	v_sub_co_u32 v0, s2, v6, 1
	v_dual_mov_b32 v3, 0 :: v_dual_add_nc_u32 v19, 1, v2
	v_add_nc_u32_e32 v7, 1, v4
	s_delay_alu instid0(VALU_DEP_3) | instskip(SKIP_1) | instid1(VALU_DEP_4)
	v_cndmask_b32_e64 v8, v0, 0xff, s2
	v_sub_co_u32 v0, s2, v4, 1
	v_dual_mov_b32 v5, v3 :: v_dual_mov_b32 v11, v3
	v_sub_co_u32 v18, s3, v2, 1
	s_delay_alu instid0(VALU_DEP_3)
	v_cndmask_b32_e64 v10, v0, 0xff, s2
	v_cmp_ne_u32_e64 s2, 0xff, v4
	v_lshlrev_b64_e32 v[0:1], 19, v[2:3]
	v_mov_b32_e32 v13, v3
	v_lshlrev_b64_e32 v[4:5], 11, v[4:5]
	v_cmp_ne_u32_e32 vcc_lo, 0xff, v2
	v_dual_cndmask_b32 v12, 0, v7, s2 :: v_dual_add_nc_u32 v2, 1, v6
	v_lshlrev_b64_e32 v[10:11], 11, v[10:11]
	s_wait_kmcnt 0x0
	v_add_nc_u64_e32 v[14:15], s[4:5], v[0:1]
	v_cmp_ne_u32_e64 s2, 0xff, v6
	v_lshlrev_b64_e32 v[12:13], 11, v[12:13]
	v_dual_mov_b32 v7, v3 :: v_dual_mov_b32 v9, v3
	s_load_b64 s[0:1], s[0:1], 0x40
	v_cndmask_b32_e64 v2, 0, v2, s2
	v_add_nc_u64_e32 v[16:17], v[14:15], v[4:5]
	s_delay_alu instid0(VALU_DEP_3)
	v_lshlrev_b64_e32 v[6:7], 3, v[6:7]
	v_add_nc_u64_e32 v[12:13], v[14:15], v[12:13]
	v_add_nc_u64_e32 v[10:11], v[14:15], v[10:11]
	v_cndmask_b32_e64 v14, v18, 0xff, s3
	v_dual_cndmask_b32 v18, 0, v19 :: v_dual_mov_b32 v19, v3
	v_mov_b32_e32 v15, v3
	v_lshl_add_u64 v[20:21], v[2:3], 3, v[16:17]
	v_add_nc_u64_e32 v[12:13], v[12:13], v[6:7]
	v_lshl_add_u64 v[8:9], v[8:9], 3, v[16:17]
	v_add_nc_u64_e32 v[10:11], v[10:11], v[6:7]
	s_clause 0x1
	global_load_b64 v[22:23], v[20:21], off
	global_load_b64 v[24:25], v[8:9], off
	v_lshlrev_b64_e32 v[2:3], 19, v[18:19]
	s_clause 0x1
	global_load_b64 v[8:9], v[12:13], off
	global_load_b64 v[18:19], v[10:11], off
	s_wait_xcnt 0x0
	v_lshlrev_b64_e32 v[10:11], 19, v[14:15]
	v_add_nc_u64_e32 v[12:13], v[16:17], v[6:7]
	v_add_nc_u64_e32 v[0:1], s[6:7], v[0:1]
	;; [unrolled: 1-line block ×3, first 2 shown]
	s_delay_alu instid0(VALU_DEP_4) | instskip(NEXT) | instid1(VALU_DEP_3)
	v_add_nc_u64_e32 v[10:11], s[4:5], v[10:11]
	v_add_nc_u64_e32 v[0:1], v[0:1], v[4:5]
	s_delay_alu instid0(VALU_DEP_3) | instskip(NEXT) | instid1(VALU_DEP_3)
	v_add_nc_u64_e32 v[2:3], v[2:3], v[4:5]
	v_add_nc_u64_e32 v[10:11], v[10:11], v[4:5]
	s_delay_alu instid0(VALU_DEP_3) | instskip(NEXT) | instid1(VALU_DEP_3)
	v_add_nc_u64_e32 v[0:1], v[0:1], v[6:7]
	v_add_nc_u64_e32 v[2:3], v[2:3], v[6:7]
	s_delay_alu instid0(VALU_DEP_3)
	v_add_nc_u64_e32 v[10:11], v[10:11], v[6:7]
	s_clause 0x2
	global_load_b64 v[14:15], v[12:13], off
	global_load_b64 v[16:17], v[2:3], off
	global_load_b64 v[20:21], v[10:11], off
	s_wait_xcnt 0x0
	v_mul_f64_e64 v[10:11], s[8:9], s[8:9]
	s_wait_loadcnt 0x5
	v_add_f64_e32 v[2:3], v[22:23], v[24:25]
	s_wait_loadcnt 0x3
	v_add_f64_e32 v[8:9], v[8:9], v[18:19]
	s_wait_loadcnt 0x2
	v_add_f64_e32 v[44:45], 1.0, v[14:15]
	s_wait_loadcnt 0x0
	v_add_f64_e32 v[12:13], v[16:17], v[20:21]
	v_mul_f64_e64 v[16:17], s[10:11], s[10:11]
	v_fmac_f64_e32 v[2:3], -2.0, v[14:15]
	v_mul_f64_e64 v[20:21], s[12:13], s[12:13]
	v_fmac_f64_e32 v[8:9], -2.0, v[14:15]
	v_fmac_f64_e32 v[12:13], -2.0, v[14:15]
	s_delay_alu instid0(VALU_DEP_4) | instskip(SKIP_1) | instid1(VALU_DEP_4)
	v_div_scale_f64 v[18:19], null, v[10:11], v[10:11], v[2:3]
	v_div_scale_f64 v[36:37], vcc_lo, v[2:3], v[10:11], v[2:3]
	v_div_scale_f64 v[22:23], null, v[16:17], v[16:17], v[8:9]
	v_div_scale_f64 v[38:39], s2, v[8:9], v[16:17], v[8:9]
	v_div_scale_f64 v[26:27], null, v[20:21], v[20:21], v[12:13]
	v_rcp_f64_e32 v[24:25], v[18:19]
	v_div_scale_f64 v[40:41], s3, v[12:13], v[20:21], v[12:13]
	s_delay_alu instid0(VALU_DEP_4) | instskip(NEXT) | instid1(VALU_DEP_2)
	v_rcp_f64_e32 v[28:29], v[22:23]
	v_rcp_f64_e32 v[30:31], v[26:27]
	s_delay_alu instid0(TRANS32_DEP_3) | instskip(NEXT) | instid1(TRANS32_DEP_2)
	v_fma_f64 v[32:33], -v[18:19], v[24:25], 1.0
	v_fma_f64 v[34:35], -v[22:23], v[28:29], 1.0
	s_delay_alu instid0(VALU_DEP_2) | instskip(NEXT) | instid1(TRANS32_DEP_1)
	v_fmac_f64_e32 v[24:25], v[24:25], v[32:33]
	v_fma_f64 v[32:33], -v[26:27], v[30:31], 1.0
	s_delay_alu instid0(VALU_DEP_3) | instskip(NEXT) | instid1(VALU_DEP_3)
	v_fmac_f64_e32 v[28:29], v[28:29], v[34:35]
	v_fma_f64 v[34:35], -v[18:19], v[24:25], 1.0
	s_delay_alu instid0(VALU_DEP_3) | instskip(NEXT) | instid1(VALU_DEP_3)
	;; [unrolled: 3-line block ×3, first 2 shown]
	v_fmac_f64_e32 v[24:25], v[24:25], v[34:35]
	v_fma_f64 v[34:35], -v[26:27], v[30:31], 1.0
	s_delay_alu instid0(VALU_DEP_3) | instskip(SKIP_1) | instid1(VALU_DEP_4)
	v_fmac_f64_e32 v[28:29], v[28:29], v[32:33]
	v_add_f64_e32 v[32:33], -1.0, v[14:15]
	v_mul_f64_e32 v[42:43], v[36:37], v[24:25]
	s_delay_alu instid0(VALU_DEP_4) | instskip(NEXT) | instid1(VALU_DEP_4)
	v_fmac_f64_e32 v[30:31], v[30:31], v[34:35]
	v_mul_f64_e32 v[34:35], v[38:39], v[28:29]
	s_delay_alu instid0(VALU_DEP_4) | instskip(NEXT) | instid1(VALU_DEP_4)
	v_mul_f64_e32 v[32:33], s[18:19], v[32:33]
	v_fma_f64 v[18:19], -v[18:19], v[42:43], v[36:37]
	s_delay_alu instid0(VALU_DEP_4) | instskip(NEXT) | instid1(VALU_DEP_4)
	v_mul_f64_e32 v[36:37], v[40:41], v[30:31]
	v_fma_f64 v[22:23], -v[22:23], v[34:35], v[38:39]
	v_add_f64_e32 v[38:39], v[14:15], v[14:15]
	v_fmac_f64_e32 v[32:33], s[16:17], v[44:45]
	v_div_fmas_f64 v[18:19], v[18:19], v[24:25], v[42:43]
	s_mov_b32 vcc_lo, s2
	v_fma_f64 v[24:25], -v[26:27], v[36:37], v[40:41]
	v_div_fmas_f64 v[22:23], v[22:23], v[28:29], v[34:35]
	s_mov_b32 vcc_lo, s3
	s_wait_kmcnt 0x0
	s_delay_alu instid0(VALU_DEP_4) | instskip(NEXT) | instid1(VALU_DEP_4)
	v_fma_f64 v[26:27], -s[0:1], v[38:39], v[32:33]
	v_div_fixup_f64 v[2:3], v[18:19], v[10:11], v[2:3]
	v_mul_f64_e32 v[18:19], v[14:15], v[14:15]
	v_div_fmas_f64 v[10:11], v[24:25], v[30:31], v[36:37]
	v_div_fixup_f64 v[8:9], v[22:23], v[16:17], v[8:9]
	v_mul_f64_e32 v[16:17], 0x40120000, v[26:27]
	s_delay_alu instid0(VALU_DEP_3) | instskip(NEXT) | instid1(VALU_DEP_3)
	v_div_fixup_f64 v[10:11], v[10:11], v[20:21], v[12:13]
	v_add_f64_e32 v[2:3], v[2:3], v[8:9]
	s_delay_alu instid0(VALU_DEP_3) | instskip(NEXT) | instid1(VALU_DEP_1)
	v_fmamk_f64 v[8:9], v[14:15], 0x40080000, v[16:17]
	v_fmac_f64_e32 v[8:9], v[14:15], v[18:19]
	s_delay_alu instid0(VALU_DEP_3) | instskip(NEXT) | instid1(VALU_DEP_1)
	v_add_f64_e32 v[2:3], v[2:3], v[10:11]
	v_fma_f64 v[2:3], -s[14:15], v[2:3], v[8:9]
	global_store_b64 v[0:1], v[2:3], off
.LBB0_2:
	s_endpgm
	.section	.rodata,"a",@progbits
	.p2align	6, 0x0
	.amdhsa_kernel _Z17chemicalPotentialPA256_A256_KdPA256_A256_dddddddd
		.amdhsa_group_segment_fixed_size 0
		.amdhsa_private_segment_fixed_size 0
		.amdhsa_kernarg_size 328
		.amdhsa_user_sgpr_count 2
		.amdhsa_user_sgpr_dispatch_ptr 0
		.amdhsa_user_sgpr_queue_ptr 0
		.amdhsa_user_sgpr_kernarg_segment_ptr 1
		.amdhsa_user_sgpr_dispatch_id 0
		.amdhsa_user_sgpr_kernarg_preload_length 0
		.amdhsa_user_sgpr_kernarg_preload_offset 0
		.amdhsa_user_sgpr_private_segment_size 0
		.amdhsa_wavefront_size32 1
		.amdhsa_uses_dynamic_stack 0
		.amdhsa_enable_private_segment 0
		.amdhsa_system_sgpr_workgroup_id_x 1
		.amdhsa_system_sgpr_workgroup_id_y 1
		.amdhsa_system_sgpr_workgroup_id_z 1
		.amdhsa_system_sgpr_workgroup_info 0
		.amdhsa_system_vgpr_workitem_id 2
		.amdhsa_next_free_vgpr 46
		.amdhsa_next_free_sgpr 20
		.amdhsa_named_barrier_count 0
		.amdhsa_reserve_vcc 1
		.amdhsa_float_round_mode_32 0
		.amdhsa_float_round_mode_16_64 0
		.amdhsa_float_denorm_mode_32 3
		.amdhsa_float_denorm_mode_16_64 3
		.amdhsa_fp16_overflow 0
		.amdhsa_memory_ordered 1
		.amdhsa_forward_progress 1
		.amdhsa_inst_pref_size 9
		.amdhsa_round_robin_scheduling 0
		.amdhsa_exception_fp_ieee_invalid_op 0
		.amdhsa_exception_fp_denorm_src 0
		.amdhsa_exception_fp_ieee_div_zero 0
		.amdhsa_exception_fp_ieee_overflow 0
		.amdhsa_exception_fp_ieee_underflow 0
		.amdhsa_exception_fp_ieee_inexact 0
		.amdhsa_exception_int_div_zero 0
	.end_amdhsa_kernel
	.text
.Lfunc_end0:
	.size	_Z17chemicalPotentialPA256_A256_KdPA256_A256_dddddddd, .Lfunc_end0-_Z17chemicalPotentialPA256_A256_KdPA256_A256_dddddddd
                                        ; -- End function
	.set _Z17chemicalPotentialPA256_A256_KdPA256_A256_dddddddd.num_vgpr, 46
	.set _Z17chemicalPotentialPA256_A256_KdPA256_A256_dddddddd.num_agpr, 0
	.set _Z17chemicalPotentialPA256_A256_KdPA256_A256_dddddddd.numbered_sgpr, 20
	.set _Z17chemicalPotentialPA256_A256_KdPA256_A256_dddddddd.num_named_barrier, 0
	.set _Z17chemicalPotentialPA256_A256_KdPA256_A256_dddddddd.private_seg_size, 0
	.set _Z17chemicalPotentialPA256_A256_KdPA256_A256_dddddddd.uses_vcc, 1
	.set _Z17chemicalPotentialPA256_A256_KdPA256_A256_dddddddd.uses_flat_scratch, 0
	.set _Z17chemicalPotentialPA256_A256_KdPA256_A256_dddddddd.has_dyn_sized_stack, 0
	.set _Z17chemicalPotentialPA256_A256_KdPA256_A256_dddddddd.has_recursion, 0
	.set _Z17chemicalPotentialPA256_A256_KdPA256_A256_dddddddd.has_indirect_call, 0
	.section	.AMDGPU.csdata,"",@progbits
; Kernel info:
; codeLenInByte = 1092
; TotalNumSgprs: 22
; NumVgprs: 46
; ScratchSize: 0
; MemoryBound: 0
; FloatMode: 240
; IeeeMode: 1
; LDSByteSize: 0 bytes/workgroup (compile time only)
; SGPRBlocks: 0
; VGPRBlocks: 2
; NumSGPRsForWavesPerEU: 22
; NumVGPRsForWavesPerEU: 46
; NamedBarCnt: 0
; Occupancy: 16
; WaveLimiterHint : 0
; COMPUTE_PGM_RSRC2:SCRATCH_EN: 0
; COMPUTE_PGM_RSRC2:USER_SGPR: 2
; COMPUTE_PGM_RSRC2:TRAP_HANDLER: 0
; COMPUTE_PGM_RSRC2:TGID_X_EN: 1
; COMPUTE_PGM_RSRC2:TGID_Y_EN: 1
; COMPUTE_PGM_RSRC2:TGID_Z_EN: 1
; COMPUTE_PGM_RSRC2:TIDIG_COMP_CNT: 2
	.text
	.protected	_Z25localFreeEnergyFunctionalPA256_A256_KdPA256_A256_dddddddd ; -- Begin function _Z25localFreeEnergyFunctionalPA256_A256_KdPA256_A256_dddddddd
	.globl	_Z25localFreeEnergyFunctionalPA256_A256_KdPA256_A256_dddddddd
	.p2align	8
	.type	_Z25localFreeEnergyFunctionalPA256_A256_KdPA256_A256_dddddddd,@function
_Z25localFreeEnergyFunctionalPA256_A256_KdPA256_A256_dddddddd: ; @_Z25localFreeEnergyFunctionalPA256_A256_KdPA256_A256_dddddddd
; %bb.0:
	s_load_b64 s[2:3], s[0:1], 0x54
	s_bfe_u32 s5, ttmp6, 0x40014
	s_bfe_u32 s8, ttmp6, 0x40010
	;; [unrolled: 1-line block ×3, first 2 shown]
	s_lshr_b32 s4, ttmp7, 16
	s_and_b32 s7, ttmp7, 0xffff
	s_add_co_i32 s5, s5, 1
	s_add_co_i32 s8, s8, 1
	;; [unrolled: 1-line block ×3, first 2 shown]
	s_bfe_u32 s6, ttmp6, 0x40008
	s_bfe_u32 s9, ttmp6, 0x40004
	s_and_b32 s10, ttmp6, 15
	s_mul_i32 s5, s4, s5
	s_mul_i32 s8, s7, s8
	s_mul_i32 s11, ttmp9, s11
	s_getreg_b32 s12, hwreg(HW_REG_IB_STS2, 6, 4)
	s_add_co_i32 s6, s6, s5
	s_add_co_i32 s9, s9, s8
	;; [unrolled: 1-line block ×3, first 2 shown]
	v_and_b32_e32 v1, 0x3ff, v0
	s_wait_kmcnt 0x0
	s_and_b32 s3, s3, 0xffff
	s_lshr_b32 s5, s2, 16
	s_and_b32 s2, s2, 0xffff
	s_cmp_eq_u32 s12, 0
	v_bfe_u32 v2, v0, 10, 10
	v_bfe_u32 v0, v0, 20, 10
	s_cselect_b32 s8, ttmp9, s10
	s_cselect_b32 s4, s4, s6
	v_mad_u32 v6, s8, s2, v1
	s_cselect_b32 s2, s7, s9
	v_mad_u32 v0, s4, s3, v0
	v_mad_u32 v4, s2, s5, v2
	s_mov_b32 s2, exec_lo
	s_delay_alu instid0(VALU_DEP_1) | instskip(NEXT) | instid1(VALU_DEP_1)
	v_or3_b32 v1, v4, v6, v0
	v_cmpx_gt_u32_e32 0x100, v1
	s_cbranch_execz .LBB1_2
; %bb.1:
	s_load_b512 s[4:19], s[0:1], 0x0
	v_sub_co_u32 v2, s2, v6, 1
	v_dual_mov_b32 v1, 0 :: v_dual_add_nc_u32 v9, 1, v6
	v_add_nc_u32_e32 v7, 1, v4
	s_delay_alu instid0(VALU_DEP_3) | instskip(SKIP_3) | instid1(VALU_DEP_3)
	v_cndmask_b32_e64 v8, v2, 0xff, s2
	v_sub_co_u32 v2, s2, v4, 1
	v_cmp_ne_u32_e32 vcc_lo, 0xff, v4
	v_dual_mov_b32 v5, v1 :: v_dual_mov_b32 v13, v1
	v_cndmask_b32_e64 v10, v2, 0xff, s2
	v_lshlrev_b64_e32 v[2:3], 19, v[0:1]
	v_dual_cndmask_b32 v12, 0, v7 :: v_dual_mov_b32 v11, v1
	v_mov_b32_e32 v7, v1
	v_lshlrev_b64_e32 v[4:5], 11, v[4:5]
	v_cmp_ne_u32_e32 vcc_lo, 0xff, v6
	s_delay_alu instid0(VALU_DEP_4)
	v_lshlrev_b64_e32 v[12:13], 11, v[12:13]
	s_wait_kmcnt 0x0
	v_add_nc_u64_e32 v[14:15], s[4:5], v[2:3]
	v_lshlrev_b64_e32 v[10:11], 11, v[10:11]
	v_lshlrev_b64_e32 v[6:7], 3, v[6:7]
	v_dual_cndmask_b32 v16, 0, v9 :: v_dual_mov_b32 v17, v1
	v_mov_b32_e32 v9, v1
	v_cmp_ne_u32_e32 vcc_lo, 0xff, v0
	v_add_nc_u64_e32 v[18:19], v[14:15], v[4:5]
	v_add_nc_u64_e32 v[12:13], v[14:15], v[12:13]
	;; [unrolled: 1-line block ×3, first 2 shown]
	v_add_f64_e64 v[28:29], s[12:13], s[12:13]
	s_load_b64 s[0:1], s[0:1], 0x40
	s_delay_alu instid0(VALU_DEP_4) | instskip(NEXT) | instid1(VALU_DEP_4)
	v_lshl_add_u64 v[14:15], v[16:17], 3, v[18:19]
	v_add_nc_u64_e32 v[12:13], v[12:13], v[6:7]
	v_lshl_add_u64 v[8:9], v[8:9], 3, v[18:19]
	v_add_nc_u64_e32 v[10:11], v[10:11], v[6:7]
	s_clause 0x3
	global_load_b64 v[16:17], v[14:15], off
	global_load_b64 v[20:21], v[8:9], off
	;; [unrolled: 1-line block ×4, first 2 shown]
	s_wait_xcnt 0x2
	v_add_nc_u32_e32 v9, 1, v0
	v_sub_co_u32 v8, s2, v0, 1
	s_delay_alu instid0(VALU_DEP_2) | instskip(NEXT) | instid1(VALU_DEP_2)
	v_dual_cndmask_b32 v0, 0, v9 :: v_dual_mov_b32 v9, v1
	v_cndmask_b32_e64 v8, v8, 0xff, s2
	s_delay_alu instid0(VALU_DEP_2) | instskip(NEXT) | instid1(VALU_DEP_2)
	v_lshlrev_b64_e32 v[0:1], 19, v[0:1]
	v_lshlrev_b64_e32 v[8:9], 19, v[8:9]
	s_delay_alu instid0(VALU_DEP_2) | instskip(NEXT) | instid1(VALU_DEP_2)
	v_add_nc_u64_e32 v[0:1], s[4:5], v[0:1]
	v_add_nc_u64_e32 v[8:9], s[4:5], v[8:9]
	s_delay_alu instid0(VALU_DEP_2) | instskip(NEXT) | instid1(VALU_DEP_2)
	v_add_nc_u64_e32 v[0:1], v[0:1], v[4:5]
	v_add_nc_u64_e32 v[8:9], v[8:9], v[4:5]
	;; [unrolled: 3-line block ×3, first 2 shown]
	s_clause 0x1
	global_load_b64 v[10:11], v[0:1], off
	global_load_b64 v[12:13], v[8:9], off
	s_wait_xcnt 0x1
	v_add_nc_u64_e32 v[0:1], v[18:19], v[6:7]
	s_wait_xcnt 0x0
	v_add_f64_e64 v[8:9], s[8:9], s[8:9]
	global_load_b64 v[0:1], v[0:1], off
	s_wait_loadcnt 0x5
	v_add_f64_e64 v[14:15], v[16:17], -v[20:21]
	v_add_f64_e64 v[16:17], s[10:11], s[10:11]
	s_wait_loadcnt 0x3
	v_add_f64_e64 v[18:19], v[22:23], -v[24:25]
	s_delay_alu instid0(VALU_DEP_3) | instskip(NEXT) | instid1(VALU_DEP_2)
	v_div_scale_f64 v[20:21], null, v[8:9], v[8:9], v[14:15]
	v_div_scale_f64 v[22:23], null, v[16:17], v[16:17], v[18:19]
	v_div_scale_f64 v[42:43], vcc_lo, v[14:15], v[8:9], v[14:15]
	s_wait_loadcnt 0x1
	v_add_f64_e64 v[10:11], v[10:11], -v[12:13]
	s_wait_loadcnt 0x0
	v_fma_f64 v[46:47], -v[0:1], v[0:1], 1.0
	v_rcp_f64_e32 v[24:25], v[20:21]
	s_delay_alu instid0(VALU_DEP_4) | instskip(NEXT) | instid1(VALU_DEP_2)
	v_rcp_f64_e32 v[26:27], v[22:23]
	v_div_scale_f64 v[12:13], null, v[28:29], v[28:29], v[10:11]
	s_delay_alu instid0(TRANS32_DEP_2) | instskip(NEXT) | instid1(TRANS32_DEP_1)
	v_fma_f64 v[30:31], -v[20:21], v[24:25], 1.0
	v_fma_f64 v[32:33], -v[22:23], v[26:27], 1.0
	s_delay_alu instid0(VALU_DEP_3) | instskip(NEXT) | instid1(VALU_DEP_2)
	v_rcp_f64_e32 v[34:35], v[12:13]
	v_fmac_f64_e32 v[24:25], v[24:25], v[30:31]
	v_add_f64_e32 v[30:31], v[0:1], v[0:1]
	s_delay_alu instid0(VALU_DEP_3) | instskip(NEXT) | instid1(TRANS32_DEP_1)
	v_fmac_f64_e32 v[26:27], v[26:27], v[32:33]
	v_fma_f64 v[38:39], -v[12:13], v[34:35], 1.0
	s_delay_alu instid0(VALU_DEP_4) | instskip(NEXT) | instid1(VALU_DEP_4)
	v_fma_f64 v[32:33], -v[20:21], v[24:25], 1.0
	v_fma_f64 v[40:41], v[0:1], v[0:1], -v[30:31]
	s_delay_alu instid0(VALU_DEP_4)
	v_fma_f64 v[36:37], -v[22:23], v[26:27], 1.0
	v_fma_f64 v[30:31], v[0:1], v[0:1], v[30:31]
	v_fmac_f64_e32 v[34:35], v[34:35], v[38:39]
	v_fmac_f64_e32 v[24:25], v[24:25], v[32:33]
	v_div_scale_f64 v[32:33], s2, v[18:19], v[16:17], v[18:19]
	v_fmac_f64_e32 v[26:27], v[26:27], v[36:37]
	v_add_f64_e32 v[36:37], 1.0, v[40:41]
	v_add_f64_e32 v[30:31], 1.0, v[30:31]
	v_fma_f64 v[44:45], -v[12:13], v[34:35], 1.0
	v_mul_f64_e32 v[38:39], v[42:43], v[24:25]
	v_mul_f64_e32 v[40:41], v[32:33], v[26:27]
	;; [unrolled: 1-line block ×3, first 2 shown]
	s_delay_alu instid0(VALU_DEP_4) | instskip(NEXT) | instid1(VALU_DEP_4)
	v_fmac_f64_e32 v[34:35], v[34:35], v[44:45]
	v_fma_f64 v[20:21], -v[20:21], v[38:39], v[42:43]
	v_add_f64_e32 v[42:43], v[46:47], v[46:47]
	v_fma_f64 v[22:23], -v[22:23], v[40:41], v[32:33]
	v_div_scale_f64 v[32:33], s3, v[10:11], v[28:29], v[10:11]
	v_fmac_f64_e32 v[36:37], s[16:17], v[30:31]
	v_div_fmas_f64 v[20:21], v[20:21], v[24:25], v[38:39]
	s_mov_b32 vcc_lo, s2
	s_delay_alu instid0(VALU_DEP_4) | instskip(NEXT) | instid1(VALU_DEP_4)
	v_div_fmas_f64 v[22:23], v[22:23], v[26:27], v[40:41]
	v_mul_f64_e32 v[24:25], v[32:33], v[34:35]
	v_ldexp_f64 v[26:27], v[0:1], -2
	s_wait_kmcnt 0x0
	v_fmac_f64_e32 v[36:37], s[0:1], v[42:43]
	s_mov_b32 vcc_lo, s3
	v_div_fixup_f64 v[8:9], v[20:21], v[8:9], v[14:15]
	v_div_fixup_f64 v[16:17], v[22:23], v[16:17], v[18:19]
	v_fma_f64 v[12:13], -v[12:13], v[24:25], v[32:33]
	v_mul_f64_e32 v[18:19], 0x3ff80000, v[0:1]
	v_mul_f64_e32 v[22:23], v[0:1], v[26:27]
	;; [unrolled: 1-line block ×4, first 2 shown]
	v_div_fmas_f64 v[12:13], v[12:13], v[34:35], v[24:25]
	s_delay_alu instid0(VALU_DEP_4) | instskip(NEXT) | instid1(VALU_DEP_4)
	v_mul_f64_e32 v[16:17], v[0:1], v[22:23]
	v_fmac_f64_e32 v[26:27], v[0:1], v[18:19]
	s_delay_alu instid0(VALU_DEP_4) | instskip(NEXT) | instid1(VALU_DEP_4)
	v_fmac_f64_e32 v[14:15], v[8:9], v[8:9]
	v_div_fixup_f64 v[8:9], v[12:13], v[28:29], v[10:11]
	s_delay_alu instid0(VALU_DEP_3) | instskip(SKIP_1) | instid1(VALU_DEP_3)
	v_fmac_f64_e32 v[26:27], v[0:1], v[16:17]
	v_mul_f64_e64 v[0:1], s[14:15], 0.5
	v_fmac_f64_e32 v[14:15], v[8:9], v[8:9]
	s_delay_alu instid0(VALU_DEP_1) | instskip(SKIP_1) | instid1(VALU_DEP_1)
	v_fmac_f64_e32 v[26:27], v[0:1], v[14:15]
	v_add_nc_u64_e32 v[0:1], s[6:7], v[2:3]
	v_add_nc_u64_e32 v[0:1], v[0:1], v[4:5]
	s_delay_alu instid0(VALU_DEP_1)
	v_add_nc_u64_e32 v[0:1], v[0:1], v[6:7]
	global_store_b64 v[0:1], v[26:27], off
.LBB1_2:
	s_endpgm
	.section	.rodata,"a",@progbits
	.p2align	6, 0x0
	.amdhsa_kernel _Z25localFreeEnergyFunctionalPA256_A256_KdPA256_A256_dddddddd
		.amdhsa_group_segment_fixed_size 0
		.amdhsa_private_segment_fixed_size 0
		.amdhsa_kernarg_size 328
		.amdhsa_user_sgpr_count 2
		.amdhsa_user_sgpr_dispatch_ptr 0
		.amdhsa_user_sgpr_queue_ptr 0
		.amdhsa_user_sgpr_kernarg_segment_ptr 1
		.amdhsa_user_sgpr_dispatch_id 0
		.amdhsa_user_sgpr_kernarg_preload_length 0
		.amdhsa_user_sgpr_kernarg_preload_offset 0
		.amdhsa_user_sgpr_private_segment_size 0
		.amdhsa_wavefront_size32 1
		.amdhsa_uses_dynamic_stack 0
		.amdhsa_enable_private_segment 0
		.amdhsa_system_sgpr_workgroup_id_x 1
		.amdhsa_system_sgpr_workgroup_id_y 1
		.amdhsa_system_sgpr_workgroup_id_z 1
		.amdhsa_system_sgpr_workgroup_info 0
		.amdhsa_system_vgpr_workitem_id 2
		.amdhsa_next_free_vgpr 48
		.amdhsa_next_free_sgpr 20
		.amdhsa_named_barrier_count 0
		.amdhsa_reserve_vcc 1
		.amdhsa_float_round_mode_32 0
		.amdhsa_float_round_mode_16_64 0
		.amdhsa_float_denorm_mode_32 3
		.amdhsa_float_denorm_mode_16_64 3
		.amdhsa_fp16_overflow 0
		.amdhsa_memory_ordered 1
		.amdhsa_forward_progress 1
		.amdhsa_inst_pref_size 9
		.amdhsa_round_robin_scheduling 0
		.amdhsa_exception_fp_ieee_invalid_op 0
		.amdhsa_exception_fp_denorm_src 0
		.amdhsa_exception_fp_ieee_div_zero 0
		.amdhsa_exception_fp_ieee_overflow 0
		.amdhsa_exception_fp_ieee_underflow 0
		.amdhsa_exception_fp_ieee_inexact 0
		.amdhsa_exception_int_div_zero 0
	.end_amdhsa_kernel
	.text
.Lfunc_end1:
	.size	_Z25localFreeEnergyFunctionalPA256_A256_KdPA256_A256_dddddddd, .Lfunc_end1-_Z25localFreeEnergyFunctionalPA256_A256_KdPA256_A256_dddddddd
                                        ; -- End function
	.set _Z25localFreeEnergyFunctionalPA256_A256_KdPA256_A256_dddddddd.num_vgpr, 48
	.set _Z25localFreeEnergyFunctionalPA256_A256_KdPA256_A256_dddddddd.num_agpr, 0
	.set _Z25localFreeEnergyFunctionalPA256_A256_KdPA256_A256_dddddddd.numbered_sgpr, 20
	.set _Z25localFreeEnergyFunctionalPA256_A256_KdPA256_A256_dddddddd.num_named_barrier, 0
	.set _Z25localFreeEnergyFunctionalPA256_A256_KdPA256_A256_dddddddd.private_seg_size, 0
	.set _Z25localFreeEnergyFunctionalPA256_A256_KdPA256_A256_dddddddd.uses_vcc, 1
	.set _Z25localFreeEnergyFunctionalPA256_A256_KdPA256_A256_dddddddd.uses_flat_scratch, 0
	.set _Z25localFreeEnergyFunctionalPA256_A256_KdPA256_A256_dddddddd.has_dyn_sized_stack, 0
	.set _Z25localFreeEnergyFunctionalPA256_A256_KdPA256_A256_dddddddd.has_recursion, 0
	.set _Z25localFreeEnergyFunctionalPA256_A256_KdPA256_A256_dddddddd.has_indirect_call, 0
	.section	.AMDGPU.csdata,"",@progbits
; Kernel info:
; codeLenInByte = 1112
; TotalNumSgprs: 22
; NumVgprs: 48
; ScratchSize: 0
; MemoryBound: 0
; FloatMode: 240
; IeeeMode: 1
; LDSByteSize: 0 bytes/workgroup (compile time only)
; SGPRBlocks: 0
; VGPRBlocks: 2
; NumSGPRsForWavesPerEU: 22
; NumVGPRsForWavesPerEU: 48
; NamedBarCnt: 0
; Occupancy: 16
; WaveLimiterHint : 0
; COMPUTE_PGM_RSRC2:SCRATCH_EN: 0
; COMPUTE_PGM_RSRC2:USER_SGPR: 2
; COMPUTE_PGM_RSRC2:TRAP_HANDLER: 0
; COMPUTE_PGM_RSRC2:TGID_X_EN: 1
; COMPUTE_PGM_RSRC2:TGID_Y_EN: 1
; COMPUTE_PGM_RSRC2:TGID_Z_EN: 1
; COMPUTE_PGM_RSRC2:TIDIG_COMP_CNT: 2
	.text
	.protected	_Z12cahnHilliardPA256_A256_dPA256_A256_KdS5_ddddd ; -- Begin function _Z12cahnHilliardPA256_A256_dPA256_A256_KdS5_ddddd
	.globl	_Z12cahnHilliardPA256_A256_dPA256_A256_KdS5_ddddd
	.p2align	8
	.type	_Z12cahnHilliardPA256_A256_dPA256_A256_KdS5_ddddd,@function
_Z12cahnHilliardPA256_A256_dPA256_A256_KdS5_ddddd: ; @_Z12cahnHilliardPA256_A256_dPA256_A256_KdS5_ddddd
; %bb.0:
	s_load_b64 s[2:3], s[0:1], 0x4c
	s_bfe_u32 s5, ttmp6, 0x40014
	s_bfe_u32 s8, ttmp6, 0x40010
	;; [unrolled: 1-line block ×3, first 2 shown]
	s_lshr_b32 s4, ttmp7, 16
	s_and_b32 s7, ttmp7, 0xffff
	s_add_co_i32 s5, s5, 1
	s_add_co_i32 s8, s8, 1
	;; [unrolled: 1-line block ×3, first 2 shown]
	s_bfe_u32 s6, ttmp6, 0x40008
	s_bfe_u32 s9, ttmp6, 0x40004
	s_and_b32 s10, ttmp6, 15
	s_mul_i32 s5, s4, s5
	s_mul_i32 s8, s7, s8
	s_mul_i32 s11, ttmp9, s11
	s_getreg_b32 s12, hwreg(HW_REG_IB_STS2, 6, 4)
	s_add_co_i32 s6, s6, s5
	s_add_co_i32 s9, s9, s8
	;; [unrolled: 1-line block ×3, first 2 shown]
	v_and_b32_e32 v1, 0x3ff, v0
	s_wait_kmcnt 0x0
	s_and_b32 s3, s3, 0xffff
	s_lshr_b32 s5, s2, 16
	s_and_b32 s2, s2, 0xffff
	s_cmp_eq_u32 s12, 0
	v_bfe_u32 v2, v0, 10, 10
	v_bfe_u32 v0, v0, 20, 10
	s_cselect_b32 s8, ttmp9, s10
	s_cselect_b32 s4, s4, s6
	v_mad_u32 v6, s8, s2, v1
	s_cselect_b32 s2, s7, s9
	s_delay_alu instid0(SALU_CYCLE_1) | instskip(SKIP_2) | instid1(VALU_DEP_1)
	v_mad_u32 v4, s2, s5, v2
	v_mad_u32 v2, s4, s3, v0
	s_mov_b32 s2, exec_lo
	v_or3_b32 v0, v4, v6, v2
	s_delay_alu instid0(VALU_DEP_1)
	v_cmpx_gt_u32_e32 0x100, v0
	s_cbranch_execz .LBB2_2
; %bb.1:
	s_load_b512 s[4:19], s[0:1], 0x0
	s_wait_xcnt 0x0
	v_sub_co_u32 v0, s0, v6, 1
	v_dual_mov_b32 v3, 0 :: v_dual_add_nc_u32 v19, 1, v2
	v_add_nc_u32_e32 v7, 1, v4
	s_delay_alu instid0(VALU_DEP_3) | instskip(SKIP_1) | instid1(VALU_DEP_4)
	v_cndmask_b32_e64 v8, v0, 0xff, s0
	v_sub_co_u32 v0, s0, v4, 1
	v_dual_mov_b32 v5, v3 :: v_dual_mov_b32 v11, v3
	v_sub_co_u32 v18, s1, v2, 1
	s_delay_alu instid0(VALU_DEP_3)
	v_cndmask_b32_e64 v10, v0, 0xff, s0
	v_cmp_ne_u32_e64 s0, 0xff, v4
	v_lshlrev_b64_e32 v[0:1], 19, v[2:3]
	v_mov_b32_e32 v13, v3
	v_lshlrev_b64_e32 v[4:5], 11, v[4:5]
	v_cmp_ne_u32_e32 vcc_lo, 0xff, v2
	v_dual_cndmask_b32 v12, 0, v7, s0 :: v_dual_add_nc_u32 v2, 1, v6
	v_lshlrev_b64_e32 v[10:11], 11, v[10:11]
	s_wait_kmcnt 0x0
	v_add_nc_u64_e32 v[14:15], s[8:9], v[0:1]
	v_cmp_ne_u32_e64 s0, 0xff, v6
	v_lshlrev_b64_e32 v[12:13], 11, v[12:13]
	v_dual_mov_b32 v7, v3 :: v_dual_mov_b32 v9, v3
	v_add_nc_u64_e32 v[28:29], s[6:7], v[0:1]
	s_delay_alu instid0(VALU_DEP_4) | instskip(SKIP_1) | instid1(VALU_DEP_4)
	v_cndmask_b32_e64 v2, 0, v2, s0
	v_add_nc_u64_e32 v[16:17], v[14:15], v[4:5]
	v_lshlrev_b64_e32 v[6:7], 3, v[6:7]
	v_add_nc_u64_e32 v[12:13], v[14:15], v[12:13]
	v_add_nc_u64_e32 v[10:11], v[14:15], v[10:11]
	v_cndmask_b32_e64 v14, v18, 0xff, s1
	v_dual_cndmask_b32 v18, 0, v19 :: v_dual_mov_b32 v19, v3
	v_mov_b32_e32 v15, v3
	v_lshl_add_u64 v[20:21], v[2:3], 3, v[16:17]
	v_add_nc_u64_e32 v[12:13], v[12:13], v[6:7]
	v_lshl_add_u64 v[8:9], v[8:9], 3, v[16:17]
	v_add_nc_u64_e32 v[10:11], v[10:11], v[6:7]
	s_clause 0x1
	global_load_b64 v[22:23], v[20:21], off
	global_load_b64 v[24:25], v[8:9], off
	v_lshlrev_b64_e32 v[2:3], 19, v[18:19]
	s_clause 0x1
	global_load_b64 v[8:9], v[12:13], off
	global_load_b64 v[18:19], v[10:11], off
	s_wait_xcnt 0x0
	v_lshlrev_b64_e32 v[10:11], 19, v[14:15]
	v_add_nc_u64_e32 v[12:13], v[16:17], v[6:7]
	v_add_nc_u64_e32 v[28:29], v[28:29], v[4:5]
	;; [unrolled: 1-line block ×5, first 2 shown]
	s_delay_alu instid0(VALU_DEP_4) | instskip(NEXT) | instid1(VALU_DEP_4)
	v_add_nc_u64_e32 v[28:29], v[28:29], v[6:7]
	v_add_nc_u64_e32 v[0:1], v[0:1], v[4:5]
	s_delay_alu instid0(VALU_DEP_4) | instskip(NEXT) | instid1(VALU_DEP_4)
	v_add_nc_u64_e32 v[2:3], v[2:3], v[4:5]
	v_add_nc_u64_e32 v[10:11], v[10:11], v[4:5]
	s_delay_alu instid0(VALU_DEP_3) | instskip(NEXT) | instid1(VALU_DEP_3)
	v_add_nc_u64_e32 v[0:1], v[0:1], v[6:7]
	v_add_nc_u64_e32 v[2:3], v[2:3], v[6:7]
	s_delay_alu instid0(VALU_DEP_3)
	v_add_nc_u64_e32 v[10:11], v[10:11], v[6:7]
	s_clause 0x2
	global_load_b64 v[14:15], v[12:13], off
	global_load_b64 v[16:17], v[2:3], off
	;; [unrolled: 1-line block ×3, first 2 shown]
	s_wait_xcnt 0x0
	v_mul_f64_e64 v[10:11], s[14:15], s[14:15]
	global_load_b64 v[28:29], v[28:29], off
	s_wait_loadcnt 0x6
	v_add_f64_e32 v[2:3], v[22:23], v[24:25]
	s_wait_loadcnt 0x4
	v_add_f64_e32 v[8:9], v[8:9], v[18:19]
	;; [unrolled: 2-line block ×3, first 2 shown]
	v_mul_f64_e64 v[16:17], s[16:17], s[16:17]
	s_delay_alu instid0(VALU_DEP_4) | instskip(SKIP_3) | instid1(VALU_DEP_4)
	v_fmac_f64_e32 v[2:3], -2.0, v[14:15]
	v_mul_f64_e64 v[20:21], s[18:19], s[18:19]
	v_fmac_f64_e32 v[8:9], -2.0, v[14:15]
	v_fmac_f64_e32 v[12:13], -2.0, v[14:15]
	v_div_scale_f64 v[18:19], null, v[10:11], v[10:11], v[2:3]
	v_div_scale_f64 v[36:37], vcc_lo, v[2:3], v[10:11], v[2:3]
	s_delay_alu instid0(VALU_DEP_4) | instskip(SKIP_3) | instid1(VALU_DEP_3)
	v_div_scale_f64 v[14:15], null, v[16:17], v[16:17], v[8:9]
	v_div_scale_f64 v[38:39], s0, v[8:9], v[16:17], v[8:9]
	v_div_scale_f64 v[24:25], null, v[20:21], v[20:21], v[12:13]
	v_rcp_f64_e32 v[22:23], v[18:19]
	v_rcp_f64_e32 v[26:27], v[14:15]
	s_delay_alu instid0(VALU_DEP_1) | instskip(NEXT) | instid1(TRANS32_DEP_3)
	v_rcp_f64_e32 v[30:31], v[24:25]
	v_fma_f64 v[32:33], -v[18:19], v[22:23], 1.0
	s_delay_alu instid0(TRANS32_DEP_2) | instskip(NEXT) | instid1(VALU_DEP_2)
	v_fma_f64 v[34:35], -v[14:15], v[26:27], 1.0
	v_fmac_f64_e32 v[22:23], v[22:23], v[32:33]
	s_delay_alu instid0(TRANS32_DEP_1) | instskip(NEXT) | instid1(VALU_DEP_3)
	v_fma_f64 v[32:33], -v[24:25], v[30:31], 1.0
	v_fmac_f64_e32 v[26:27], v[26:27], v[34:35]
	s_delay_alu instid0(VALU_DEP_3) | instskip(NEXT) | instid1(VALU_DEP_3)
	v_fma_f64 v[34:35], -v[18:19], v[22:23], 1.0
	v_fmac_f64_e32 v[30:31], v[30:31], v[32:33]
	s_delay_alu instid0(VALU_DEP_3) | instskip(NEXT) | instid1(VALU_DEP_3)
	;; [unrolled: 3-line block ×3, first 2 shown]
	v_fma_f64 v[34:35], -v[24:25], v[30:31], 1.0
	v_fmac_f64_e32 v[26:27], v[26:27], v[32:33]
	v_div_scale_f64 v[32:33], s1, v[12:13], v[20:21], v[12:13]
	s_delay_alu instid0(VALU_DEP_4) | instskip(NEXT) | instid1(VALU_DEP_4)
	v_mul_f64_e32 v[40:41], v[36:37], v[22:23]
	v_fmac_f64_e32 v[30:31], v[30:31], v[34:35]
	s_delay_alu instid0(VALU_DEP_4) | instskip(NEXT) | instid1(VALU_DEP_3)
	v_mul_f64_e32 v[34:35], v[38:39], v[26:27]
	v_fma_f64 v[18:19], -v[18:19], v[40:41], v[36:37]
	s_delay_alu instid0(VALU_DEP_3) | instskip(NEXT) | instid1(VALU_DEP_3)
	v_mul_f64_e32 v[36:37], v[32:33], v[30:31]
	v_fma_f64 v[14:15], -v[14:15], v[34:35], v[38:39]
	s_delay_alu instid0(VALU_DEP_3) | instskip(SKIP_1) | instid1(VALU_DEP_3)
	v_div_fmas_f64 v[18:19], v[18:19], v[22:23], v[40:41]
	s_mov_b32 vcc_lo, s0
	v_fma_f64 v[22:23], -v[24:25], v[36:37], v[32:33]
	s_delay_alu instid0(VALU_DEP_3) | instskip(SKIP_1) | instid1(VALU_DEP_3)
	v_div_fmas_f64 v[14:15], v[14:15], v[26:27], v[34:35]
	s_mov_b32 vcc_lo, s1
	v_div_fixup_f64 v[2:3], v[18:19], v[10:11], v[2:3]
	s_delay_alu instid0(VALU_DEP_3) | instskip(NEXT) | instid1(VALU_DEP_3)
	v_div_fmas_f64 v[10:11], v[22:23], v[30:31], v[36:37]
	v_div_fixup_f64 v[8:9], v[14:15], v[16:17], v[8:9]
	s_delay_alu instid0(VALU_DEP_2) | instskip(NEXT) | instid1(VALU_DEP_2)
	v_div_fixup_f64 v[10:11], v[10:11], v[20:21], v[12:13]
	v_add_f64_e32 v[2:3], v[2:3], v[8:9]
	v_mul_f64_e64 v[8:9], s[10:11], s[12:13]
	s_delay_alu instid0(VALU_DEP_2) | instskip(SKIP_1) | instid1(VALU_DEP_1)
	v_add_f64_e32 v[2:3], v[2:3], v[10:11]
	s_wait_loadcnt 0x0
	v_fmac_f64_e32 v[28:29], v[8:9], v[2:3]
	global_store_b64 v[0:1], v[28:29], off
.LBB2_2:
	s_endpgm
	.section	.rodata,"a",@progbits
	.p2align	6, 0x0
	.amdhsa_kernel _Z12cahnHilliardPA256_A256_dPA256_A256_KdS5_ddddd
		.amdhsa_group_segment_fixed_size 0
		.amdhsa_private_segment_fixed_size 0
		.amdhsa_kernarg_size 320
		.amdhsa_user_sgpr_count 2
		.amdhsa_user_sgpr_dispatch_ptr 0
		.amdhsa_user_sgpr_queue_ptr 0
		.amdhsa_user_sgpr_kernarg_segment_ptr 1
		.amdhsa_user_sgpr_dispatch_id 0
		.amdhsa_user_sgpr_kernarg_preload_length 0
		.amdhsa_user_sgpr_kernarg_preload_offset 0
		.amdhsa_user_sgpr_private_segment_size 0
		.amdhsa_wavefront_size32 1
		.amdhsa_uses_dynamic_stack 0
		.amdhsa_enable_private_segment 0
		.amdhsa_system_sgpr_workgroup_id_x 1
		.amdhsa_system_sgpr_workgroup_id_y 1
		.amdhsa_system_sgpr_workgroup_id_z 1
		.amdhsa_system_sgpr_workgroup_info 0
		.amdhsa_system_vgpr_workitem_id 2
		.amdhsa_next_free_vgpr 42
		.amdhsa_next_free_sgpr 20
		.amdhsa_named_barrier_count 0
		.amdhsa_reserve_vcc 1
		.amdhsa_float_round_mode_32 0
		.amdhsa_float_round_mode_16_64 0
		.amdhsa_float_denorm_mode_32 3
		.amdhsa_float_denorm_mode_16_64 3
		.amdhsa_fp16_overflow 0
		.amdhsa_memory_ordered 1
		.amdhsa_forward_progress 1
		.amdhsa_inst_pref_size 9
		.amdhsa_round_robin_scheduling 0
		.amdhsa_exception_fp_ieee_invalid_op 0
		.amdhsa_exception_fp_denorm_src 0
		.amdhsa_exception_fp_ieee_div_zero 0
		.amdhsa_exception_fp_ieee_overflow 0
		.amdhsa_exception_fp_ieee_underflow 0
		.amdhsa_exception_fp_ieee_inexact 0
		.amdhsa_exception_int_div_zero 0
	.end_amdhsa_kernel
	.text
.Lfunc_end2:
	.size	_Z12cahnHilliardPA256_A256_dPA256_A256_KdS5_ddddd, .Lfunc_end2-_Z12cahnHilliardPA256_A256_dPA256_A256_KdS5_ddddd
                                        ; -- End function
	.set _Z12cahnHilliardPA256_A256_dPA256_A256_KdS5_ddddd.num_vgpr, 42
	.set _Z12cahnHilliardPA256_A256_dPA256_A256_KdS5_ddddd.num_agpr, 0
	.set _Z12cahnHilliardPA256_A256_dPA256_A256_KdS5_ddddd.numbered_sgpr, 20
	.set _Z12cahnHilliardPA256_A256_dPA256_A256_KdS5_ddddd.num_named_barrier, 0
	.set _Z12cahnHilliardPA256_A256_dPA256_A256_KdS5_ddddd.private_seg_size, 0
	.set _Z12cahnHilliardPA256_A256_dPA256_A256_KdS5_ddddd.uses_vcc, 1
	.set _Z12cahnHilliardPA256_A256_dPA256_A256_KdS5_ddddd.uses_flat_scratch, 0
	.set _Z12cahnHilliardPA256_A256_dPA256_A256_KdS5_ddddd.has_dyn_sized_stack, 0
	.set _Z12cahnHilliardPA256_A256_dPA256_A256_KdS5_ddddd.has_recursion, 0
	.set _Z12cahnHilliardPA256_A256_dPA256_A256_KdS5_ddddd.has_indirect_call, 0
	.section	.AMDGPU.csdata,"",@progbits
; Kernel info:
; codeLenInByte = 1060
; TotalNumSgprs: 22
; NumVgprs: 42
; ScratchSize: 0
; MemoryBound: 0
; FloatMode: 240
; IeeeMode: 1
; LDSByteSize: 0 bytes/workgroup (compile time only)
; SGPRBlocks: 0
; VGPRBlocks: 2
; NumSGPRsForWavesPerEU: 22
; NumVGPRsForWavesPerEU: 42
; NamedBarCnt: 0
; Occupancy: 16
; WaveLimiterHint : 0
; COMPUTE_PGM_RSRC2:SCRATCH_EN: 0
; COMPUTE_PGM_RSRC2:USER_SGPR: 2
; COMPUTE_PGM_RSRC2:TRAP_HANDLER: 0
; COMPUTE_PGM_RSRC2:TGID_X_EN: 1
; COMPUTE_PGM_RSRC2:TGID_Y_EN: 1
; COMPUTE_PGM_RSRC2:TGID_Z_EN: 1
; COMPUTE_PGM_RSRC2:TIDIG_COMP_CNT: 2
	.text
	.protected	_Z4SwapPA256_A256_dS1_  ; -- Begin function _Z4SwapPA256_A256_dS1_
	.globl	_Z4SwapPA256_A256_dS1_
	.p2align	8
	.type	_Z4SwapPA256_A256_dS1_,@function
_Z4SwapPA256_A256_dS1_:                 ; @_Z4SwapPA256_A256_dS1_
; %bb.0:
	s_load_b64 s[2:3], s[0:1], 0x1c
	s_bfe_u32 s5, ttmp6, 0x40014
	s_bfe_u32 s8, ttmp6, 0x40010
	;; [unrolled: 1-line block ×3, first 2 shown]
	s_lshr_b32 s4, ttmp7, 16
	s_and_b32 s7, ttmp7, 0xffff
	s_add_co_i32 s5, s5, 1
	s_add_co_i32 s8, s8, 1
	;; [unrolled: 1-line block ×3, first 2 shown]
	s_bfe_u32 s6, ttmp6, 0x40008
	s_bfe_u32 s9, ttmp6, 0x40004
	s_and_b32 s10, ttmp6, 15
	s_mul_i32 s5, s4, s5
	s_mul_i32 s8, s7, s8
	s_mul_i32 s11, ttmp9, s11
	s_getreg_b32 s12, hwreg(HW_REG_IB_STS2, 6, 4)
	s_add_co_i32 s6, s6, s5
	s_add_co_i32 s9, s9, s8
	;; [unrolled: 1-line block ×3, first 2 shown]
	v_and_b32_e32 v1, 0x3ff, v0
	s_wait_kmcnt 0x0
	s_and_b32 s3, s3, 0xffff
	s_lshr_b32 s5, s2, 16
	s_and_b32 s2, s2, 0xffff
	s_cmp_eq_u32 s12, 0
	v_bfe_u32 v2, v0, 10, 10
	v_bfe_u32 v3, v0, 20, 10
	s_cselect_b32 s8, ttmp9, s10
	s_cselect_b32 s4, s4, s6
	v_mad_u32 v0, s8, s2, v1
	s_cselect_b32 s2, s7, s9
	s_delay_alu instid0(SALU_CYCLE_1) | instskip(SKIP_2) | instid1(VALU_DEP_1)
	v_mad_u32 v4, s2, s5, v2
	v_mad_u32 v2, s4, s3, v3
	s_mov_b32 s2, exec_lo
	v_or3_b32 v1, v4, v0, v2
	s_delay_alu instid0(VALU_DEP_1)
	v_cmpx_gt_u32_e32 0x100, v1
	s_cbranch_execz .LBB3_2
; %bb.1:
	s_load_b128 s[0:3], s[0:1], 0x0
	v_mov_b32_e32 v3, 0
	s_delay_alu instid0(VALU_DEP_1) | instskip(SKIP_1) | instid1(VALU_DEP_1)
	v_lshlrev_b64_e32 v[6:7], 19, v[2:3]
	v_dual_mov_b32 v5, v3 :: v_dual_mov_b32 v1, v3
	v_lshlrev_b64_e32 v[4:5], 11, v[4:5]
	s_delay_alu instid0(VALU_DEP_2) | instskip(SKIP_1) | instid1(VALU_DEP_4)
	v_lshlrev_b64_e32 v[0:1], 3, v[0:1]
	s_wait_kmcnt 0x0
	v_add_nc_u64_e32 v[8:9], s[2:3], v[6:7]
	v_add_nc_u64_e32 v[6:7], s[0:1], v[6:7]
	s_delay_alu instid0(VALU_DEP_2) | instskip(NEXT) | instid1(VALU_DEP_2)
	v_add_nc_u64_e32 v[2:3], v[8:9], v[4:5]
	v_add_nc_u64_e32 v[4:5], v[6:7], v[4:5]
	s_delay_alu instid0(VALU_DEP_2) | instskip(NEXT) | instid1(VALU_DEP_2)
	v_add_nc_u64_e32 v[2:3], v[2:3], v[0:1]
	v_add_nc_u64_e32 v[0:1], v[4:5], v[0:1]
	global_load_b64 v[4:5], v[2:3], off
	global_load_b64 v[6:7], v[0:1], off
	s_wait_loadcnt 0x1
	global_store_b64 v[0:1], v[4:5], off
	s_wait_loadcnt 0x0
	global_store_b64 v[2:3], v[6:7], off
.LBB3_2:
	s_endpgm
	.section	.rodata,"a",@progbits
	.p2align	6, 0x0
	.amdhsa_kernel _Z4SwapPA256_A256_dS1_
		.amdhsa_group_segment_fixed_size 0
		.amdhsa_private_segment_fixed_size 0
		.amdhsa_kernarg_size 272
		.amdhsa_user_sgpr_count 2
		.amdhsa_user_sgpr_dispatch_ptr 0
		.amdhsa_user_sgpr_queue_ptr 0
		.amdhsa_user_sgpr_kernarg_segment_ptr 1
		.amdhsa_user_sgpr_dispatch_id 0
		.amdhsa_user_sgpr_kernarg_preload_length 0
		.amdhsa_user_sgpr_kernarg_preload_offset 0
		.amdhsa_user_sgpr_private_segment_size 0
		.amdhsa_wavefront_size32 1
		.amdhsa_uses_dynamic_stack 0
		.amdhsa_enable_private_segment 0
		.amdhsa_system_sgpr_workgroup_id_x 1
		.amdhsa_system_sgpr_workgroup_id_y 1
		.amdhsa_system_sgpr_workgroup_id_z 1
		.amdhsa_system_sgpr_workgroup_info 0
		.amdhsa_system_vgpr_workitem_id 2
		.amdhsa_next_free_vgpr 10
		.amdhsa_next_free_sgpr 13
		.amdhsa_named_barrier_count 0
		.amdhsa_reserve_vcc 0
		.amdhsa_float_round_mode_32 0
		.amdhsa_float_round_mode_16_64 0
		.amdhsa_float_denorm_mode_32 3
		.amdhsa_float_denorm_mode_16_64 3
		.amdhsa_fp16_overflow 0
		.amdhsa_memory_ordered 1
		.amdhsa_forward_progress 1
		.amdhsa_inst_pref_size 3
		.amdhsa_round_robin_scheduling 0
		.amdhsa_exception_fp_ieee_invalid_op 0
		.amdhsa_exception_fp_denorm_src 0
		.amdhsa_exception_fp_ieee_div_zero 0
		.amdhsa_exception_fp_ieee_overflow 0
		.amdhsa_exception_fp_ieee_underflow 0
		.amdhsa_exception_fp_ieee_inexact 0
		.amdhsa_exception_int_div_zero 0
	.end_amdhsa_kernel
	.text
.Lfunc_end3:
	.size	_Z4SwapPA256_A256_dS1_, .Lfunc_end3-_Z4SwapPA256_A256_dS1_
                                        ; -- End function
	.set _Z4SwapPA256_A256_dS1_.num_vgpr, 10
	.set _Z4SwapPA256_A256_dS1_.num_agpr, 0
	.set _Z4SwapPA256_A256_dS1_.numbered_sgpr, 13
	.set _Z4SwapPA256_A256_dS1_.num_named_barrier, 0
	.set _Z4SwapPA256_A256_dS1_.private_seg_size, 0
	.set _Z4SwapPA256_A256_dS1_.uses_vcc, 0
	.set _Z4SwapPA256_A256_dS1_.uses_flat_scratch, 0
	.set _Z4SwapPA256_A256_dS1_.has_dyn_sized_stack, 0
	.set _Z4SwapPA256_A256_dS1_.has_recursion, 0
	.set _Z4SwapPA256_A256_dS1_.has_indirect_call, 0
	.section	.AMDGPU.csdata,"",@progbits
; Kernel info:
; codeLenInByte = 364
; TotalNumSgprs: 13
; NumVgprs: 10
; ScratchSize: 0
; MemoryBound: 0
; FloatMode: 240
; IeeeMode: 1
; LDSByteSize: 0 bytes/workgroup (compile time only)
; SGPRBlocks: 0
; VGPRBlocks: 0
; NumSGPRsForWavesPerEU: 13
; NumVGPRsForWavesPerEU: 10
; NamedBarCnt: 0
; Occupancy: 16
; WaveLimiterHint : 0
; COMPUTE_PGM_RSRC2:SCRATCH_EN: 0
; COMPUTE_PGM_RSRC2:USER_SGPR: 2
; COMPUTE_PGM_RSRC2:TRAP_HANDLER: 0
; COMPUTE_PGM_RSRC2:TGID_X_EN: 1
; COMPUTE_PGM_RSRC2:TGID_Y_EN: 1
; COMPUTE_PGM_RSRC2:TGID_Z_EN: 1
; COMPUTE_PGM_RSRC2:TIDIG_COMP_CNT: 2
	.text
	.p2alignl 7, 3214868480
	.fill 96, 4, 3214868480
	.section	.AMDGPU.gpr_maximums,"",@progbits
	.set amdgpu.max_num_vgpr, 0
	.set amdgpu.max_num_agpr, 0
	.set amdgpu.max_num_sgpr, 0
	.text
	.type	__hip_cuid_8d5769b670ef170d,@object ; @__hip_cuid_8d5769b670ef170d
	.section	.bss,"aw",@nobits
	.globl	__hip_cuid_8d5769b670ef170d
__hip_cuid_8d5769b670ef170d:
	.byte	0                               ; 0x0
	.size	__hip_cuid_8d5769b670ef170d, 1

	.ident	"AMD clang version 22.0.0git (https://github.com/RadeonOpenCompute/llvm-project roc-7.2.4 26084 f58b06dce1f9c15707c5f808fd002e18c2accf7e)"
	.section	".note.GNU-stack","",@progbits
	.addrsig
	.addrsig_sym __hip_cuid_8d5769b670ef170d
	.amdgpu_metadata
---
amdhsa.kernels:
  - .args:
      - .address_space:  global
        .offset:         0
        .size:           8
        .value_kind:     global_buffer
      - .address_space:  global
        .offset:         8
        .size:           8
        .value_kind:     global_buffer
      - .offset:         16
        .size:           8
        .value_kind:     by_value
      - .offset:         24
        .size:           8
        .value_kind:     by_value
      - .offset:         32
        .size:           8
        .value_kind:     by_value
      - .offset:         40
        .size:           8
        .value_kind:     by_value
      - .offset:         48
        .size:           8
        .value_kind:     by_value
      - .offset:         56
        .size:           8
        .value_kind:     by_value
      - .offset:         64
        .size:           8
        .value_kind:     by_value
      - .offset:         72
        .size:           4
        .value_kind:     hidden_block_count_x
      - .offset:         76
        .size:           4
        .value_kind:     hidden_block_count_y
      - .offset:         80
        .size:           4
        .value_kind:     hidden_block_count_z
      - .offset:         84
        .size:           2
        .value_kind:     hidden_group_size_x
      - .offset:         86
        .size:           2
        .value_kind:     hidden_group_size_y
      - .offset:         88
        .size:           2
        .value_kind:     hidden_group_size_z
      - .offset:         90
        .size:           2
        .value_kind:     hidden_remainder_x
      - .offset:         92
        .size:           2
        .value_kind:     hidden_remainder_y
      - .offset:         94
        .size:           2
        .value_kind:     hidden_remainder_z
      - .offset:         112
        .size:           8
        .value_kind:     hidden_global_offset_x
      - .offset:         120
        .size:           8
        .value_kind:     hidden_global_offset_y
      - .offset:         128
        .size:           8
        .value_kind:     hidden_global_offset_z
      - .offset:         136
        .size:           2
        .value_kind:     hidden_grid_dims
    .group_segment_fixed_size: 0
    .kernarg_segment_align: 8
    .kernarg_segment_size: 328
    .language:       OpenCL C
    .language_version:
      - 2
      - 0
    .max_flat_workgroup_size: 1024
    .name:           _Z17chemicalPotentialPA256_A256_KdPA256_A256_dddddddd
    .private_segment_fixed_size: 0
    .sgpr_count:     22
    .sgpr_spill_count: 0
    .symbol:         _Z17chemicalPotentialPA256_A256_KdPA256_A256_dddddddd.kd
    .uniform_work_group_size: 1
    .uses_dynamic_stack: false
    .vgpr_count:     46
    .vgpr_spill_count: 0
    .wavefront_size: 32
  - .args:
      - .address_space:  global
        .offset:         0
        .size:           8
        .value_kind:     global_buffer
      - .address_space:  global
        .offset:         8
        .size:           8
        .value_kind:     global_buffer
      - .offset:         16
        .size:           8
        .value_kind:     by_value
      - .offset:         24
        .size:           8
        .value_kind:     by_value
      - .offset:         32
        .size:           8
        .value_kind:     by_value
      - .offset:         40
        .size:           8
        .value_kind:     by_value
      - .offset:         48
        .size:           8
        .value_kind:     by_value
      - .offset:         56
        .size:           8
        .value_kind:     by_value
      - .offset:         64
        .size:           8
        .value_kind:     by_value
      - .offset:         72
        .size:           4
        .value_kind:     hidden_block_count_x
      - .offset:         76
        .size:           4
        .value_kind:     hidden_block_count_y
      - .offset:         80
        .size:           4
        .value_kind:     hidden_block_count_z
      - .offset:         84
        .size:           2
        .value_kind:     hidden_group_size_x
      - .offset:         86
        .size:           2
        .value_kind:     hidden_group_size_y
      - .offset:         88
        .size:           2
        .value_kind:     hidden_group_size_z
      - .offset:         90
        .size:           2
        .value_kind:     hidden_remainder_x
      - .offset:         92
        .size:           2
        .value_kind:     hidden_remainder_y
      - .offset:         94
        .size:           2
        .value_kind:     hidden_remainder_z
      - .offset:         112
        .size:           8
        .value_kind:     hidden_global_offset_x
      - .offset:         120
        .size:           8
        .value_kind:     hidden_global_offset_y
      - .offset:         128
        .size:           8
        .value_kind:     hidden_global_offset_z
      - .offset:         136
        .size:           2
        .value_kind:     hidden_grid_dims
    .group_segment_fixed_size: 0
    .kernarg_segment_align: 8
    .kernarg_segment_size: 328
    .language:       OpenCL C
    .language_version:
      - 2
      - 0
    .max_flat_workgroup_size: 1024
    .name:           _Z25localFreeEnergyFunctionalPA256_A256_KdPA256_A256_dddddddd
    .private_segment_fixed_size: 0
    .sgpr_count:     22
    .sgpr_spill_count: 0
    .symbol:         _Z25localFreeEnergyFunctionalPA256_A256_KdPA256_A256_dddddddd.kd
    .uniform_work_group_size: 1
    .uses_dynamic_stack: false
    .vgpr_count:     48
    .vgpr_spill_count: 0
    .wavefront_size: 32
  - .args:
      - .address_space:  global
        .offset:         0
        .size:           8
        .value_kind:     global_buffer
      - .address_space:  global
        .offset:         8
        .size:           8
        .value_kind:     global_buffer
      - .address_space:  global
        .offset:         16
        .size:           8
        .value_kind:     global_buffer
      - .offset:         24
        .size:           8
        .value_kind:     by_value
      - .offset:         32
        .size:           8
        .value_kind:     by_value
      - .offset:         40
        .size:           8
        .value_kind:     by_value
      - .offset:         48
        .size:           8
        .value_kind:     by_value
      - .offset:         56
        .size:           8
        .value_kind:     by_value
      - .offset:         64
        .size:           4
        .value_kind:     hidden_block_count_x
      - .offset:         68
        .size:           4
        .value_kind:     hidden_block_count_y
      - .offset:         72
        .size:           4
        .value_kind:     hidden_block_count_z
      - .offset:         76
        .size:           2
        .value_kind:     hidden_group_size_x
      - .offset:         78
        .size:           2
        .value_kind:     hidden_group_size_y
      - .offset:         80
        .size:           2
        .value_kind:     hidden_group_size_z
      - .offset:         82
        .size:           2
        .value_kind:     hidden_remainder_x
      - .offset:         84
        .size:           2
        .value_kind:     hidden_remainder_y
      - .offset:         86
        .size:           2
        .value_kind:     hidden_remainder_z
      - .offset:         104
        .size:           8
        .value_kind:     hidden_global_offset_x
      - .offset:         112
        .size:           8
        .value_kind:     hidden_global_offset_y
      - .offset:         120
        .size:           8
        .value_kind:     hidden_global_offset_z
      - .offset:         128
        .size:           2
        .value_kind:     hidden_grid_dims
    .group_segment_fixed_size: 0
    .kernarg_segment_align: 8
    .kernarg_segment_size: 320
    .language:       OpenCL C
    .language_version:
      - 2
      - 0
    .max_flat_workgroup_size: 1024
    .name:           _Z12cahnHilliardPA256_A256_dPA256_A256_KdS5_ddddd
    .private_segment_fixed_size: 0
    .sgpr_count:     22
    .sgpr_spill_count: 0
    .symbol:         _Z12cahnHilliardPA256_A256_dPA256_A256_KdS5_ddddd.kd
    .uniform_work_group_size: 1
    .uses_dynamic_stack: false
    .vgpr_count:     42
    .vgpr_spill_count: 0
    .wavefront_size: 32
  - .args:
      - .address_space:  global
        .offset:         0
        .size:           8
        .value_kind:     global_buffer
      - .address_space:  global
        .offset:         8
        .size:           8
        .value_kind:     global_buffer
      - .offset:         16
        .size:           4
        .value_kind:     hidden_block_count_x
      - .offset:         20
        .size:           4
        .value_kind:     hidden_block_count_y
      - .offset:         24
        .size:           4
        .value_kind:     hidden_block_count_z
      - .offset:         28
        .size:           2
        .value_kind:     hidden_group_size_x
      - .offset:         30
        .size:           2
        .value_kind:     hidden_group_size_y
      - .offset:         32
        .size:           2
        .value_kind:     hidden_group_size_z
      - .offset:         34
        .size:           2
        .value_kind:     hidden_remainder_x
      - .offset:         36
        .size:           2
        .value_kind:     hidden_remainder_y
      - .offset:         38
        .size:           2
        .value_kind:     hidden_remainder_z
      - .offset:         56
        .size:           8
        .value_kind:     hidden_global_offset_x
      - .offset:         64
        .size:           8
        .value_kind:     hidden_global_offset_y
      - .offset:         72
        .size:           8
        .value_kind:     hidden_global_offset_z
      - .offset:         80
        .size:           2
        .value_kind:     hidden_grid_dims
    .group_segment_fixed_size: 0
    .kernarg_segment_align: 8
    .kernarg_segment_size: 272
    .language:       OpenCL C
    .language_version:
      - 2
      - 0
    .max_flat_workgroup_size: 1024
    .name:           _Z4SwapPA256_A256_dS1_
    .private_segment_fixed_size: 0
    .sgpr_count:     13
    .sgpr_spill_count: 0
    .symbol:         _Z4SwapPA256_A256_dS1_.kd
    .uniform_work_group_size: 1
    .uses_dynamic_stack: false
    .vgpr_count:     10
    .vgpr_spill_count: 0
    .wavefront_size: 32
amdhsa.target:   amdgcn-amd-amdhsa--gfx1250
amdhsa.version:
  - 1
  - 2
...

	.end_amdgpu_metadata
